;; amdgpu-corpus repo=ROCm/rocFFT kind=compiled arch=gfx950 opt=O3
	.text
	.amdgcn_target "amdgcn-amd-amdhsa--gfx950"
	.amdhsa_code_object_version 6
	.protected	bluestein_single_fwd_len49_dim1_dp_op_CI_CI ; -- Begin function bluestein_single_fwd_len49_dim1_dp_op_CI_CI
	.globl	bluestein_single_fwd_len49_dim1_dp_op_CI_CI
	.p2align	8
	.type	bluestein_single_fwd_len49_dim1_dp_op_CI_CI,@function
bluestein_single_fwd_len49_dim1_dp_op_CI_CI: ; @bluestein_single_fwd_len49_dim1_dp_op_CI_CI
; %bb.0:
	s_load_dwordx4 s[16:19], s[0:1], 0x28
	v_mul_u32_u24_e32 v1, 0x2493, v0
	v_lshrrev_b32_e32 v2, 16, v1
	v_mad_u64_u32 v[52:53], s[2:3], s2, 9, v[2:3]
	v_mov_b32_e32 v53, 0
	s_waitcnt lgkmcnt(0)
	v_cmp_gt_u64_e32 vcc, s[16:17], v[52:53]
	s_and_saveexec_b64 s[2:3], vcc
	s_cbranch_execz .LBB0_2
; %bb.1:
	s_load_dwordx4 s[4:7], s[0:1], 0x18
	s_load_dwordx4 s[8:11], s[0:1], 0x0
	v_mul_lo_u16_e32 v1, 7, v2
	v_sub_u16_e32 v56, v0, v1
	v_mov_b32_e32 v4, s18
	s_waitcnt lgkmcnt(0)
	s_load_dwordx4 s[12:15], s[4:5], 0x0
	v_mov_b32_e32 v5, s19
	v_mov_b32_e32 v53, 0x70
	v_lshlrev_b32_e32 v54, 4, v56
	global_load_dwordx4 v[24:27], v54, s[8:9]
	s_waitcnt lgkmcnt(0)
	v_mad_u64_u32 v[0:1], s[2:3], s14, v52, 0
	v_mov_b32_e32 v2, v1
	v_mad_u64_u32 v[2:3], s[2:3], s15, v52, v[2:3]
	v_mov_b32_e32 v1, v2
	v_mad_u64_u32 v[2:3], s[2:3], s12, v56, 0
	v_mov_b32_e32 v6, v3
	v_mad_u64_u32 v[6:7], s[2:3], s13, v56, v[6:7]
	v_mov_b32_e32 v3, v6
	v_lshl_add_u64 v[0:1], v[0:1], 4, v[4:5]
	v_lshl_add_u64 v[0:1], v[2:3], 4, v[0:1]
	global_load_dwordx4 v[28:31], v[0:1], off
	v_mad_u64_u32 v[0:1], s[2:3], s12, v53, v[0:1]
	s_mul_i32 s4, s13, 0x70
	v_add_u32_e32 v1, s4, v1
	global_load_dwordx4 v[16:19], v54, s[8:9] offset:112
	global_load_dwordx4 v[32:35], v[0:1], off
	v_mad_u64_u32 v[4:5], s[2:3], s12, v53, v[0:1]
	v_add_u32_e32 v5, s4, v5
	global_load_dwordx4 v[36:39], v[4:5], off
	global_load_dwordx4 v[0:3], v54, s[8:9] offset:224
	v_mad_u64_u32 v[4:5], s[2:3], s12, v53, v[4:5]
	v_add_u32_e32 v5, s4, v5
	global_load_dwordx4 v[20:23], v54, s[8:9] offset:336
	global_load_dwordx4 v[40:43], v[4:5], off
	v_mad_u64_u32 v[8:9], s[2:3], s12, v53, v[4:5]
	v_add_u32_e32 v9, s4, v9
	global_load_dwordx4 v[44:47], v[8:9], off
	global_load_dwordx4 v[4:7], v54, s[8:9] offset:448
	v_mad_u64_u32 v[12:13], s[2:3], s12, v53, v[8:9]
	v_add_u32_e32 v13, s4, v13
	global_load_dwordx4 v[48:51], v[12:13], off
	global_load_dwordx4 v[8:11], v54, s[8:9] offset:560
	v_mad_u64_u32 v[62:63], s[2:3], s12, v53, v[12:13]
	v_add_u32_e32 v63, s4, v63
	global_load_dwordx4 v[12:15], v54, s[8:9] offset:672
	global_load_dwordx4 v[58:61], v[62:63], off
	s_mov_b32 s2, 0x38e38e39
	v_mul_hi_u32 v55, v52, s2
	v_lshrrev_b32_e32 v55, 1, v55
	v_lshl_add_u32 v55, v55, 3, v55
	v_sub_u32_e32 v55, v52, v55
	v_mul_u32_u24_e32 v55, 49, v55
	v_lshlrev_b32_e32 v55, 4, v55
	v_add_u32_e32 v57, v54, v55
	s_load_dwordx4 s[4:7], s[6:7], 0x0
	s_mov_b32 s12, 0x37e14327
	s_mov_b32 s2, 0x36b3c0b5
	;; [unrolled: 1-line block ×22, first 2 shown]
	s_load_dwordx2 s[0:1], s[0:1], 0x38
	s_waitcnt vmcnt(12)
	v_mul_f64 v[62:63], v[30:31], v[26:27]
	v_mul_f64 v[64:65], v[28:29], v[26:27]
	v_fmac_f64_e32 v[62:63], v[28:29], v[24:25]
	v_fma_f64 v[64:65], v[30:31], v[24:25], -v[64:65]
	ds_write_b128 v57, v[62:65]
	s_waitcnt vmcnt(10)
	v_mul_f64 v[28:29], v[34:35], v[18:19]
	v_mul_f64 v[30:31], v[32:33], v[18:19]
	v_fmac_f64_e32 v[28:29], v[32:33], v[16:17]
	v_fma_f64 v[30:31], v[34:35], v[16:17], -v[30:31]
	ds_write_b128 v57, v[28:31] offset:112
	s_waitcnt vmcnt(8)
	v_mul_f64 v[28:29], v[38:39], v[2:3]
	v_mul_f64 v[30:31], v[36:37], v[2:3]
	v_fmac_f64_e32 v[28:29], v[36:37], v[0:1]
	v_fma_f64 v[30:31], v[38:39], v[0:1], -v[30:31]
	ds_write_b128 v57, v[28:31] offset:224
	;; [unrolled: 6-line block ×6, first 2 shown]
	s_waitcnt lgkmcnt(0)
	; wave barrier
	s_waitcnt lgkmcnt(0)
	ds_read_b128 v[28:31], v57
	ds_read_b128 v[32:35], v57 offset:112
	ds_read_b128 v[36:39], v57 offset:672
	;; [unrolled: 1-line block ×6, first 2 shown]
	s_waitcnt lgkmcnt(4)
	v_add_f64 v[62:63], v[32:33], v[36:37]
	v_add_f64 v[32:33], v[32:33], -v[36:37]
	v_add_f64 v[64:65], v[34:35], v[38:39]
	v_add_f64 v[34:35], v[34:35], -v[38:39]
	s_waitcnt lgkmcnt(0)
	v_add_f64 v[36:37], v[40:41], v[58:59]
	v_add_f64 v[38:39], v[42:43], v[60:61]
	v_add_f64 v[40:41], v[40:41], -v[58:59]
	v_add_f64 v[58:59], v[44:45], v[48:49]
	v_add_f64 v[44:45], v[48:49], -v[44:45]
	;; [unrolled: 2-line block ×4, first 2 shown]
	v_add_f64 v[50:51], v[38:39], v[64:65]
	v_add_f64 v[48:49], v[58:59], v[48:49]
	v_add_f64 v[72:73], v[46:47], v[42:43]
	v_add_f64 v[50:51], v[60:61], v[50:51]
	v_add_f64 v[28:29], v[28:29], v[48:49]
	v_add_f64 v[66:67], v[36:37], -v[62:63]
	v_add_f64 v[68:69], v[38:39], -v[64:65]
	;; [unrolled: 1-line block ×6, first 2 shown]
	v_add_f64 v[70:71], v[44:45], v[40:41]
	v_add_f64 v[58:59], v[44:45], -v[40:41]
	v_add_f64 v[60:61], v[46:47], -v[42:43]
	v_add_f64 v[46:47], v[34:35], -v[46:47]
	v_add_f64 v[42:43], v[42:43], -v[34:35]
	v_add_f64 v[34:35], v[72:73], v[34:35]
	v_add_f64 v[30:31], v[30:31], v[50:51]
	v_mov_b64_e32 v[72:73], v[28:29]
	v_add_f64 v[44:45], v[32:33], -v[44:45]
	v_add_f64 v[40:41], v[40:41], -v[32:33]
	v_add_f64 v[32:33], v[70:71], v[32:33]
	v_mul_f64 v[62:63], v[62:63], s[12:13]
	v_mul_f64 v[70:71], v[36:37], s[2:3]
	v_fmac_f64_e32 v[72:73], s[16:17], v[48:49]
	v_mov_b64_e32 v[48:49], v[30:31]
	v_mul_f64 v[74:75], v[58:59], s[18:19]
	v_mul_f64 v[58:59], v[60:61], s[18:19]
	;; [unrolled: 1-line block ×3, first 2 shown]
	v_fmac_f64_e32 v[48:49], s[16:17], v[50:51]
	v_mul_f64 v[50:51], v[38:39], s[2:3]
	v_fma_f64 v[60:61], v[66:67], s[20:21], -v[70:71]
	v_fma_f64 v[66:67], v[66:67], s[24:25], -v[62:63]
	v_fmac_f64_e32 v[62:63], s[2:3], v[36:37]
	v_mul_f64 v[70:71], v[40:41], s[14:15]
	v_fma_f64 v[78:79], v[42:43], s[28:29], -v[58:59]
	v_fmac_f64_e32 v[58:59], s[22:23], v[46:47]
	v_fma_f64 v[36:37], v[68:69], s[20:21], -v[50:51]
	v_fma_f64 v[50:51], v[68:69], s[24:25], -v[64:65]
	v_mul_f64 v[68:69], v[42:43], s[14:15]
	v_fma_f64 v[76:77], v[40:41], s[28:29], -v[74:75]
	v_fmac_f64_e32 v[74:75], s[22:23], v[44:45]
	v_fmac_f64_e32 v[70:71], s[30:31], v[44:45]
	v_add_f64 v[62:63], v[62:63], v[72:73]
	v_fmac_f64_e32 v[58:59], s[26:27], v[34:35]
	v_fmac_f64_e32 v[64:65], s[2:3], v[38:39]
	;; [unrolled: 1-line block ×6, first 2 shown]
	v_add_f64 v[32:33], v[62:63], v[58:59]
	v_add_f64 v[58:59], v[62:63], -v[58:59]
	v_mul_lo_u16_e32 v62, 7, v56
	v_add_f64 v[64:65], v[64:65], v[48:49]
	v_add_f64 v[44:45], v[60:61], v[72:73]
	;; [unrolled: 1-line block ×5, first 2 shown]
	v_fmac_f64_e32 v[78:79], s[26:27], v[34:35]
	v_fmac_f64_e32 v[68:69], s[26:27], v[34:35]
	v_lshl_add_u32 v55, v62, 4, v55
	v_add_f64 v[34:35], v[64:65], -v[74:75]
	v_add_f64 v[36:37], v[60:61], v[68:69]
	v_add_f64 v[38:39], v[50:51], -v[70:71]
	v_add_f64 v[40:41], v[44:45], -v[78:79]
	v_add_f64 v[42:43], v[76:77], v[46:47]
	v_add_f64 v[44:45], v[44:45], v[78:79]
	v_add_f64 v[46:47], v[46:47], -v[76:77]
	v_add_f64 v[48:49], v[60:61], -v[68:69]
	v_add_f64 v[50:51], v[70:71], v[50:51]
	v_add_f64 v[60:61], v[74:75], v[64:65]
	s_waitcnt lgkmcnt(0)
	; wave barrier
	ds_write_b128 v55, v[28:31]
	ds_write_b128 v55, v[32:35] offset:16
	ds_write_b128 v55, v[36:39] offset:32
	;; [unrolled: 1-line block ×6, first 2 shown]
	v_mul_u32_u24_e32 v28, 6, v56
	v_lshlrev_b32_e32 v58, 4, v28
	s_waitcnt lgkmcnt(0)
	; wave barrier
	s_waitcnt lgkmcnt(0)
	global_load_dwordx4 v[40:43], v58, s[10:11]
	global_load_dwordx4 v[36:39], v58, s[10:11] offset:16
	global_load_dwordx4 v[32:35], v58, s[10:11] offset:32
	global_load_dwordx4 v[28:31], v58, s[10:11] offset:48
	global_load_dwordx4 v[44:47], v58, s[10:11] offset:64
	global_load_dwordx4 v[48:51], v58, s[10:11] offset:80
	ds_read_b128 v[58:61], v57 offset:112
	ds_read_b128 v[62:65], v57 offset:224
	;; [unrolled: 1-line block ×5, first 2 shown]
	ds_read_b128 v[78:81], v57
	s_waitcnt vmcnt(5) lgkmcnt(5)
	v_mul_f64 v[82:83], v[60:61], v[42:43]
	v_fma_f64 v[82:83], v[58:59], v[40:41], -v[82:83]
	v_mul_f64 v[84:85], v[58:59], v[42:43]
	s_waitcnt vmcnt(4) lgkmcnt(4)
	v_mul_f64 v[58:59], v[64:65], v[38:39]
	v_fma_f64 v[86:87], v[62:63], v[36:37], -v[58:59]
	v_mul_f64 v[62:63], v[62:63], v[38:39]
	s_waitcnt vmcnt(3) lgkmcnt(3)
	v_mul_f64 v[58:59], v[68:69], v[34:35]
	v_fmac_f64_e32 v[62:63], v[64:65], v[36:37]
	v_fma_f64 v[64:65], v[66:67], v[32:33], -v[58:59]
	v_mul_f64 v[66:67], v[66:67], v[34:35]
	s_waitcnt vmcnt(2) lgkmcnt(2)
	v_mul_f64 v[58:59], v[72:73], v[30:31]
	v_fmac_f64_e32 v[84:85], v[60:61], v[40:41]
	v_fmac_f64_e32 v[66:67], v[68:69], v[32:33]
	v_fma_f64 v[68:69], v[70:71], v[28:29], -v[58:59]
	ds_read_b128 v[58:61], v57 offset:672
	v_mul_f64 v[70:71], v[70:71], v[30:31]
	v_fmac_f64_e32 v[70:71], v[72:73], v[28:29]
	s_waitcnt vmcnt(1) lgkmcnt(2)
	v_mul_f64 v[72:73], v[76:77], v[46:47]
	v_fma_f64 v[72:73], v[74:75], v[44:45], -v[72:73]
	v_mul_f64 v[74:75], v[74:75], v[46:47]
	v_fmac_f64_e32 v[74:75], v[76:77], v[44:45]
	s_waitcnt vmcnt(0) lgkmcnt(0)
	v_mul_f64 v[76:77], v[60:61], v[50:51]
	v_fma_f64 v[76:77], v[58:59], v[48:49], -v[76:77]
	v_mul_f64 v[88:89], v[58:59], v[50:51]
	v_fmac_f64_e32 v[88:89], v[60:61], v[48:49]
	v_add_f64 v[90:91], v[82:83], v[76:77]
	v_add_f64 v[92:93], v[86:87], v[72:73]
	;; [unrolled: 1-line block ×11, first 2 shown]
	v_add_f64 v[78:79], v[84:85], -v[88:89]
	v_add_f64 v[62:63], v[62:63], -v[74:75]
	;; [unrolled: 1-line block ×3, first 2 shown]
	v_add_f64 v[60:61], v[80:81], v[104:105]
	v_add_f64 v[76:77], v[82:83], -v[76:77]
	v_add_f64 v[72:73], v[86:87], -v[72:73]
	;; [unrolled: 1-line block ×3, first 2 shown]
	v_mov_b64_e32 v[80:81], v[58:59]
	v_add_f64 v[84:85], v[92:93], -v[90:91]
	v_add_f64 v[86:87], v[94:95], -v[92:93]
	;; [unrolled: 1-line block ×4, first 2 shown]
	v_add_f64 v[68:69], v[70:71], v[62:63]
	v_add_f64 v[100:101], v[62:63], -v[78:79]
	v_add_f64 v[90:91], v[90:91], -v[94:95]
	v_fmac_f64_e32 v[80:81], s[16:17], v[96:97]
	v_mov_b64_e32 v[82:83], v[60:61]
	v_add_f64 v[64:65], v[74:75], v[72:73]
	v_add_f64 v[66:67], v[74:75], -v[72:73]
	v_add_f64 v[72:73], v[72:73], -v[76:77]
	;; [unrolled: 1-line block ×3, first 2 shown]
	v_add_f64 v[106:107], v[68:69], v[78:79]
	v_add_f64 v[94:95], v[98:99], -v[102:103]
	v_add_f64 v[98:99], v[76:77], -v[74:75]
	;; [unrolled: 1-line block ×3, first 2 shown]
	v_mul_f64 v[90:91], v[90:91], s[12:13]
	v_mul_f64 v[74:75], v[100:101], s[14:15]
	v_fmac_f64_e32 v[82:83], s[16:17], v[104:105]
	v_add_f64 v[104:105], v[64:65], v[76:77]
	v_mul_f64 v[108:109], v[66:67], s[18:19]
	v_mul_f64 v[96:97], v[96:97], s[18:19]
	;; [unrolled: 1-line block ×6, first 2 shown]
	v_fma_f64 v[70:71], v[84:85], s[24:25], -v[90:91]
	v_fmac_f64_e32 v[74:75], s[30:31], v[78:79]
	v_fma_f64 v[62:63], v[84:85], s[20:21], -v[62:63]
	v_fma_f64 v[64:65], v[88:89], s[20:21], -v[64:65]
	;; [unrolled: 1-line block ×5, first 2 shown]
	v_fmac_f64_e32 v[76:77], s[30:31], v[98:99]
	v_add_f64 v[84:85], v[70:71], v[80:81]
	v_fmac_f64_e32 v[74:75], s[26:27], v[106:107]
	v_fmac_f64_e32 v[90:91], s[2:3], v[86:87]
	;; [unrolled: 1-line block ×5, first 2 shown]
	v_add_f64 v[66:67], v[62:63], v[80:81]
	v_add_f64 v[68:69], v[64:65], v[82:83]
	v_fmac_f64_e32 v[110:111], s[26:27], v[104:105]
	v_fmac_f64_e32 v[112:113], s[26:27], v[106:107]
	v_add_f64 v[88:89], v[72:73], v[82:83]
	v_fmac_f64_e32 v[76:77], s[26:27], v[104:105]
	v_add_f64 v[70:71], v[74:75], v[84:85]
	v_add_f64 v[74:75], v[84:85], -v[74:75]
	v_add_f64 v[84:85], v[90:91], v[80:81]
	v_add_f64 v[86:87], v[94:95], v[82:83]
	v_fmac_f64_e32 v[108:109], s[26:27], v[104:105]
	v_fmac_f64_e32 v[96:97], s[26:27], v[106:107]
	v_add_f64 v[62:63], v[66:67], -v[112:113]
	v_add_f64 v[64:65], v[110:111], v[68:69]
	v_add_f64 v[66:67], v[112:113], v[66:67]
	v_add_f64 v[68:69], v[68:69], -v[110:111]
	v_add_f64 v[72:73], v[88:89], -v[76:77]
	v_add_f64 v[76:77], v[76:77], v[88:89]
	v_add_f64 v[78:79], v[96:97], v[84:85]
	v_add_f64 v[80:81], v[86:87], -v[108:109]
	v_add_f64 v[82:83], v[84:85], -v[96:97]
	v_add_f64 v[84:85], v[108:109], v[86:87]
	ds_write_b128 v57, v[58:61]
	ds_write_b128 v57, v[78:81] offset:112
	ds_write_b128 v57, v[70:73] offset:224
	ds_write_b128 v57, v[62:65] offset:336
	ds_write_b128 v57, v[66:69] offset:448
	ds_write_b128 v57, v[74:77] offset:560
	ds_write_b128 v57, v[82:85] offset:672
	s_waitcnt lgkmcnt(0)
	; wave barrier
	s_waitcnt lgkmcnt(0)
	global_load_dwordx4 v[58:61], v54, s[8:9] offset:784
	s_add_u32 s8, s8, 0x310
	s_addc_u32 s9, s9, 0
	global_load_dwordx4 v[62:65], v54, s[8:9] offset:112
	global_load_dwordx4 v[66:69], v54, s[8:9] offset:224
	;; [unrolled: 1-line block ×6, first 2 shown]
	ds_read_b128 v[86:89], v57
	ds_read_b128 v[90:93], v57 offset:112
	s_mov_b32 s19, 0x3fe11646
	s_mov_b32 s27, 0xbfdc38aa
	v_mov_b32_e32 v54, s0
	s_waitcnt vmcnt(6) lgkmcnt(1)
	v_mul_f64 v[94:95], v[88:89], v[60:61]
	v_mul_f64 v[96:97], v[86:87], v[60:61]
	v_fma_f64 v[94:95], v[86:87], v[58:59], -v[94:95]
	v_fmac_f64_e32 v[96:97], v[88:89], v[58:59]
	s_waitcnt vmcnt(5) lgkmcnt(0)
	v_mul_f64 v[86:87], v[92:93], v[64:65]
	ds_read_b128 v[58:61], v57 offset:224
	v_mul_f64 v[88:89], v[90:91], v[64:65]
	v_fma_f64 v[86:87], v[90:91], v[62:63], -v[86:87]
	v_fmac_f64_e32 v[88:89], v[92:93], v[62:63]
	ds_read_b128 v[62:65], v57 offset:336
	s_waitcnt vmcnt(4) lgkmcnt(1)
	v_mul_f64 v[90:91], v[60:61], v[68:69]
	v_mul_f64 v[92:93], v[58:59], v[68:69]
	v_fma_f64 v[90:91], v[58:59], v[66:67], -v[90:91]
	v_fmac_f64_e32 v[92:93], v[60:61], v[66:67]
	s_waitcnt vmcnt(3) lgkmcnt(0)
	v_mul_f64 v[66:67], v[64:65], v[72:73]
	ds_read_b128 v[58:61], v57 offset:448
	v_mul_f64 v[68:69], v[62:63], v[72:73]
	v_fma_f64 v[66:67], v[62:63], v[70:71], -v[66:67]
	v_fmac_f64_e32 v[68:69], v[64:65], v[70:71]
	ds_read_b128 v[62:65], v57 offset:560
	s_waitcnt vmcnt(2) lgkmcnt(1)
	v_mul_f64 v[70:71], v[60:61], v[76:77]
	v_mul_f64 v[72:73], v[58:59], v[76:77]
	v_fma_f64 v[70:71], v[58:59], v[74:75], -v[70:71]
	v_fmac_f64_e32 v[72:73], v[60:61], v[74:75]
	s_waitcnt vmcnt(1) lgkmcnt(0)
	v_mul_f64 v[58:59], v[64:65], v[80:81]
	v_mul_f64 v[60:61], v[62:63], v[80:81]
	ds_write_b128 v57, v[94:97]
	ds_write_b128 v57, v[86:89] offset:112
	v_fma_f64 v[58:59], v[62:63], v[78:79], -v[58:59]
	v_fmac_f64_e32 v[60:61], v[64:65], v[78:79]
	ds_read_b128 v[62:65], v57 offset:672
	ds_write_b128 v57, v[90:93] offset:224
	ds_write_b128 v57, v[66:69] offset:336
	;; [unrolled: 1-line block ×4, first 2 shown]
	s_waitcnt vmcnt(0) lgkmcnt(4)
	v_mul_f64 v[58:59], v[64:65], v[84:85]
	v_mul_f64 v[60:61], v[62:63], v[84:85]
	v_fma_f64 v[58:59], v[62:63], v[82:83], -v[58:59]
	v_fmac_f64_e32 v[60:61], v[64:65], v[82:83]
	ds_write_b128 v57, v[58:61] offset:672
	s_waitcnt lgkmcnt(0)
	; wave barrier
	s_waitcnt lgkmcnt(0)
	ds_read_b128 v[58:61], v57 offset:672
	ds_read_b128 v[62:65], v57 offset:112
	;; [unrolled: 1-line block ×3, first 2 shown]
	ds_read_b128 v[70:73], v57
	ds_read_b128 v[74:77], v57 offset:224
	s_waitcnt lgkmcnt(3)
	v_add_f64 v[78:79], v[62:63], v[58:59]
	v_add_f64 v[80:81], v[64:65], v[60:61]
	v_add_f64 v[82:83], v[62:63], -v[58:59]
	v_add_f64 v[84:85], v[64:65], -v[60:61]
	ds_read_b128 v[58:61], v57 offset:336
	ds_read_b128 v[62:65], v57 offset:448
	s_waitcnt lgkmcnt(2)
	v_add_f64 v[86:87], v[74:75], v[66:67]
	v_add_f64 v[88:89], v[76:77], v[68:69]
	v_add_f64 v[66:67], v[74:75], -v[66:67]
	v_add_f64 v[68:69], v[76:77], -v[68:69]
	s_waitcnt lgkmcnt(0)
	v_add_f64 v[74:75], v[58:59], v[62:63]
	v_add_f64 v[90:91], v[62:63], -v[58:59]
	v_add_f64 v[58:59], v[86:87], v[78:79]
	v_add_f64 v[76:77], v[60:61], v[64:65]
	;; [unrolled: 1-line block ×4, first 2 shown]
	v_add_f64 v[92:93], v[64:65], -v[60:61]
	v_add_f64 v[64:65], v[76:77], v[58:59]
	v_add_f64 v[58:59], v[70:71], v[62:63]
	;; [unrolled: 1-line block ×3, first 2 shown]
	v_mov_b64_e32 v[94:95], v[58:59]
	v_mov_b64_e32 v[96:97], v[60:61]
	v_fmac_f64_e32 v[94:95], s[16:17], v[62:63]
	v_fmac_f64_e32 v[96:97], s[16:17], v[64:65]
	v_add_f64 v[70:71], v[86:87], -v[78:79]
	v_add_f64 v[86:87], v[74:75], -v[86:87]
	v_add_f64 v[72:73], v[88:89], -v[80:81]
	v_add_f64 v[88:89], v[76:77], -v[88:89]
	v_add_f64 v[62:63], v[90:91], v[66:67]
	v_add_f64 v[64:65], v[90:91], -v[66:67]
	v_add_f64 v[100:101], v[92:93], -v[68:69]
	;; [unrolled: 1-line block ×3, first 2 shown]
	v_add_f64 v[66:67], v[92:93], v[68:69]
	v_add_f64 v[102:103], v[68:69], -v[84:85]
	v_add_f64 v[104:105], v[62:63], v[82:83]
	v_mul_f64 v[108:109], v[64:65], s[18:19]
	v_mul_f64 v[100:101], v[100:101], s[18:19]
	;; [unrolled: 1-line block ×4, first 2 shown]
	v_add_f64 v[74:75], v[78:79], -v[74:75]
	v_add_f64 v[76:77], v[80:81], -v[76:77]
	v_add_f64 v[106:107], v[66:67], v[84:85]
	v_fma_f64 v[62:63], v[70:71], s[20:21], -v[62:63]
	v_fma_f64 v[64:65], v[72:73], s[20:21], -v[64:65]
	;; [unrolled: 1-line block ×4, first 2 shown]
	v_add_f64 v[78:79], v[82:83], -v[90:91]
	v_add_f64 v[80:81], v[84:85], -v[92:93]
	v_mul_f64 v[82:83], v[74:75], s[12:13]
	v_mul_f64 v[84:85], v[76:77], s[12:13]
	;; [unrolled: 1-line block ×4, first 2 shown]
	v_add_f64 v[66:67], v[62:63], v[94:95]
	v_add_f64 v[68:69], v[64:65], v[96:97]
	v_fmac_f64_e32 v[110:111], s[26:27], v[104:105]
	v_fmac_f64_e32 v[112:113], s[26:27], v[106:107]
	v_fma_f64 v[70:71], v[70:71], s[24:25], -v[82:83]
	v_fma_f64 v[72:73], v[72:73], s[24:25], -v[84:85]
	v_fmac_f64_e32 v[76:77], s[22:23], v[78:79]
	v_fmac_f64_e32 v[74:75], s[22:23], v[80:81]
	;; [unrolled: 1-line block ×6, first 2 shown]
	v_add_f64 v[62:63], v[66:67], -v[112:113]
	v_add_f64 v[64:65], v[110:111], v[68:69]
	v_add_f64 v[90:91], v[70:71], v[94:95]
	;; [unrolled: 1-line block ×3, first 2 shown]
	v_fmac_f64_e32 v[76:77], s[26:27], v[104:105]
	v_fmac_f64_e32 v[74:75], s[26:27], v[106:107]
	v_add_f64 v[82:83], v[82:83], v[94:95]
	v_add_f64 v[84:85], v[84:85], v[96:97]
	v_fmac_f64_e32 v[108:109], s[26:27], v[104:105]
	v_fmac_f64_e32 v[100:101], s[26:27], v[106:107]
	v_add_f64 v[66:67], v[66:67], v[112:113]
	v_add_f64 v[68:69], v[68:69], -v[110:111]
	v_add_f64 v[70:71], v[90:91], v[74:75]
	v_add_f64 v[72:73], v[92:93], -v[76:77]
	v_add_f64 v[74:75], v[90:91], -v[74:75]
	v_add_f64 v[76:77], v[76:77], v[92:93]
	v_add_f64 v[78:79], v[82:83], v[100:101]
	v_add_f64 v[80:81], v[84:85], -v[108:109]
	v_add_f64 v[82:83], v[82:83], -v[100:101]
	v_add_f64 v[84:85], v[108:109], v[84:85]
	s_waitcnt lgkmcnt(0)
	; wave barrier
	ds_write_b128 v55, v[58:61]
	ds_write_b128 v55, v[78:81] offset:16
	ds_write_b128 v55, v[70:73] offset:32
	;; [unrolled: 1-line block ×6, first 2 shown]
	s_waitcnt lgkmcnt(0)
	; wave barrier
	s_waitcnt lgkmcnt(0)
	ds_read_b128 v[58:61], v57 offset:112
	ds_read_b128 v[62:65], v57
	ds_read_b128 v[66:69], v57 offset:224
	v_mov_b32_e32 v55, s1
	v_mad_u64_u32 v[72:73], s[0:1], s6, v52, 0
	s_waitcnt lgkmcnt(2)
	v_mul_f64 v[70:71], v[42:43], v[60:61]
	v_mul_f64 v[42:43], v[42:43], v[58:59]
	v_fmac_f64_e32 v[70:71], v[40:41], v[58:59]
	v_fma_f64 v[58:59], v[40:41], v[60:61], -v[42:43]
	ds_read_b128 v[40:43], v57 offset:336
	s_waitcnt lgkmcnt(1)
	v_mul_f64 v[60:61], v[38:39], v[68:69]
	v_mul_f64 v[38:39], v[38:39], v[66:67]
	v_fmac_f64_e32 v[60:61], v[36:37], v[66:67]
	v_fma_f64 v[66:67], v[36:37], v[68:69], -v[38:39]
	ds_read_b128 v[36:39], v57 offset:448
	;; [unrolled: 6-line block ×4, first 2 shown]
	s_waitcnt lgkmcnt(1)
	v_mul_f64 v[38:39], v[46:47], v[34:35]
	v_fmac_f64_e32 v[38:39], v[44:45], v[32:33]
	v_mul_f64 v[32:33], v[46:47], v[32:33]
	v_fma_f64 v[32:33], v[44:45], v[34:35], -v[32:33]
	s_waitcnt lgkmcnt(0)
	v_mul_f64 v[34:35], v[50:51], v[30:31]
	v_fmac_f64_e32 v[34:35], v[48:49], v[28:29]
	v_mul_f64 v[28:29], v[50:51], v[28:29]
	v_fma_f64 v[28:29], v[48:49], v[30:31], -v[28:29]
	v_add_f64 v[30:31], v[70:71], v[34:35]
	v_add_f64 v[44:45], v[58:59], v[28:29]
	v_add_f64 v[46:47], v[58:59], -v[28:29]
	v_add_f64 v[28:29], v[60:61], v[38:39]
	v_add_f64 v[48:49], v[66:67], v[32:33]
	;; [unrolled: 1-line block ×4, first 2 shown]
	v_add_f64 v[36:37], v[36:37], -v[40:41]
	v_add_f64 v[40:41], v[28:29], v[30:31]
	v_add_f64 v[38:39], v[60:61], -v[38:39]
	v_add_f64 v[60:61], v[48:49], v[44:45]
	v_add_f64 v[40:41], v[50:51], v[40:41]
	v_add_f64 v[34:35], v[70:71], -v[34:35]
	v_add_f64 v[32:33], v[66:67], -v[32:33]
	;; [unrolled: 1-line block ×5, first 2 shown]
	v_add_f64 v[50:51], v[58:59], v[60:61]
	v_add_f64 v[28:29], v[62:63], v[40:41]
	;; [unrolled: 1-line block ×3, first 2 shown]
	v_mov_b64_e32 v[64:65], v[28:29]
	v_add_f64 v[42:43], v[42:43], -v[68:69]
	v_add_f64 v[68:69], v[48:49], -v[44:45]
	;; [unrolled: 1-line block ×4, first 2 shown]
	v_add_f64 v[58:59], v[36:37], v[32:33]
	v_fmac_f64_e32 v[64:65], s[16:17], v[40:41]
	v_mov_b64_e32 v[40:41], v[30:31]
	v_add_f64 v[76:77], v[42:43], v[38:39]
	v_add_f64 v[60:61], v[42:43], -v[38:39]
	v_add_f64 v[38:39], v[38:39], -v[34:35]
	;; [unrolled: 1-line block ×5, first 2 shown]
	v_add_f64 v[46:47], v[58:59], v[46:47]
	v_mul_f64 v[58:59], v[70:71], s[12:13]
	v_fmac_f64_e32 v[40:41], s[16:17], v[50:51]
	v_mul_f64 v[50:51], v[74:75], s[2:3]
	v_add_f64 v[42:43], v[34:35], -v[42:43]
	v_add_f64 v[34:35], v[76:77], v[34:35]
	v_mul_f64 v[44:45], v[44:45], s[12:13]
	v_fma_f64 v[70:71], s[2:3], v[74:75], v[58:59]
	v_fma_f64 v[50:51], v[66:67], s[20:21], -v[50:51]
	v_fma_f64 v[58:59], v[66:67], s[24:25], -v[58:59]
	v_mul_f64 v[66:67], v[48:49], s[2:3]
	v_mul_f64 v[60:61], v[60:61], s[18:19]
	;; [unrolled: 1-line block ×5, first 2 shown]
	v_fma_f64 v[66:67], v[68:69], s[20:21], -v[66:67]
	v_fma_f64 v[68:69], v[68:69], s[24:25], -v[44:45]
	v_fmac_f64_e32 v[44:45], s[2:3], v[48:49]
	v_fma_f64 v[48:49], v[38:39], s[14:15], -v[60:61]
	v_fma_f64 v[60:61], s[30:31], v[42:43], v[60:61]
	v_fmac_f64_e32 v[74:75], s[22:23], v[42:43]
	v_fma_f64 v[42:43], v[32:33], s[14:15], -v[62:63]
	v_fmac_f64_e32 v[62:63], s[30:31], v[36:37]
	v_fmac_f64_e32 v[76:77], s[22:23], v[36:37]
	v_add_f64 v[70:71], v[70:71], v[64:65]
	v_add_f64 v[80:81], v[44:45], v[40:41]
	;; [unrolled: 1-line block ×6, first 2 shown]
	v_fmac_f64_e32 v[60:61], s[26:27], v[34:35]
	v_fmac_f64_e32 v[62:63], s[26:27], v[46:47]
	;; [unrolled: 1-line block ×6, first 2 shown]
	v_add_f64 v[32:33], v[62:63], v[70:71]
	v_add_f64 v[34:35], v[80:81], -v[60:61]
	v_add_f64 v[36:37], v[44:45], -v[42:43]
	v_add_f64 v[38:39], v[48:49], v[50:51]
	v_add_f64 v[40:41], v[42:43], v[44:45]
	v_add_f64 v[42:43], v[50:51], -v[48:49]
	v_add_f64 v[44:45], v[76:77], v[58:59]
	v_add_f64 v[46:47], v[64:65], -v[74:75]
	v_add_f64 v[48:49], v[58:59], -v[76:77]
	v_add_f64 v[50:51], v[74:75], v[64:65]
	v_add_f64 v[58:59], v[70:71], -v[62:63]
	v_add_f64 v[60:61], v[60:61], v[80:81]
	ds_write_b128 v57, v[28:31]
	ds_write_b128 v57, v[32:35] offset:112
	ds_write_b128 v57, v[44:47] offset:224
	;; [unrolled: 1-line block ×6, first 2 shown]
	s_waitcnt lgkmcnt(0)
	; wave barrier
	s_waitcnt lgkmcnt(0)
	ds_read_b128 v[28:31], v57
	v_mov_b32_e32 v78, v73
	v_mad_u64_u32 v[32:33], s[0:1], s7, v52, v[78:79]
	v_mov_b32_e32 v73, v32
	ds_read_b128 v[32:35], v57 offset:112
	s_waitcnt lgkmcnt(1)
	v_mul_f64 v[36:37], v[26:27], v[30:31]
	s_mov_b32 s0, 0xa72f0539
	v_mul_f64 v[26:27], v[26:27], v[28:29]
	v_fmac_f64_e32 v[36:37], v[24:25], v[28:29]
	s_mov_b32 s1, 0x3f94e5e0
	v_fma_f64 v[24:25], v[24:25], v[30:31], -v[26:27]
	v_mul_f64 v[38:39], v[24:25], s[0:1]
	v_mad_u64_u32 v[24:25], s[2:3], s4, v56, 0
	v_mov_b32_e32 v26, v25
	v_mad_u64_u32 v[26:27], s[2:3], s5, v56, v[26:27]
	v_mov_b32_e32 v25, v26
	v_lshl_add_u64 v[26:27], v[72:73], 4, v[54:55]
	v_lshl_add_u64 v[28:29], v[24:25], 4, v[26:27]
	s_waitcnt lgkmcnt(0)
	v_mul_f64 v[24:25], v[18:19], v[34:35]
	v_mul_f64 v[18:19], v[18:19], v[32:33]
	v_fmac_f64_e32 v[24:25], v[16:17], v[32:33]
	v_fma_f64 v[16:17], v[16:17], v[34:35], -v[18:19]
	v_mul_f64 v[26:27], v[16:17], s[0:1]
	v_mad_u64_u32 v[32:33], s[2:3], s4, v53, v[28:29]
	ds_read_b128 v[16:19], v57 offset:224
	s_mulk_i32 s5, 0x70
	v_mul_f64 v[36:37], v[36:37], s[0:1]
	v_mul_f64 v[24:25], v[24:25], s[0:1]
	v_add_u32_e32 v33, s5, v33
	global_store_dwordx4 v[28:29], v[36:39], off
	global_store_dwordx4 v[32:33], v[24:27], off
	ds_read_b128 v[24:27], v57 offset:336
	s_waitcnt lgkmcnt(1)
	v_mul_f64 v[28:29], v[2:3], v[18:19]
	v_mul_f64 v[2:3], v[2:3], v[16:17]
	v_fmac_f64_e32 v[28:29], v[0:1], v[16:17]
	v_fma_f64 v[0:1], v[0:1], v[18:19], -v[2:3]
	v_mad_u64_u32 v[32:33], s[2:3], s4, v53, v[32:33]
	v_mul_f64 v[30:31], v[0:1], s[0:1]
	v_add_u32_e32 v33, s5, v33
	s_waitcnt lgkmcnt(0)
	v_mul_f64 v[0:1], v[22:23], v[26:27]
	v_mul_f64 v[2:3], v[22:23], v[24:25]
	v_fmac_f64_e32 v[0:1], v[20:21], v[24:25]
	v_fma_f64 v[2:3], v[20:21], v[26:27], -v[2:3]
	ds_read_b128 v[16:19], v57 offset:448
	v_mad_u64_u32 v[24:25], s[2:3], s4, v53, v[32:33]
	v_mul_f64 v[28:29], v[28:29], s[0:1]
	v_mul_f64 v[0:1], v[0:1], s[0:1]
	;; [unrolled: 1-line block ×3, first 2 shown]
	v_add_u32_e32 v25, s5, v25
	global_store_dwordx4 v[32:33], v[28:31], off
	global_store_dwordx4 v[24:25], v[0:3], off
	ds_read_b128 v[0:3], v57 offset:560
	s_waitcnt lgkmcnt(1)
	v_mul_f64 v[20:21], v[6:7], v[18:19]
	v_mul_f64 v[6:7], v[6:7], v[16:17]
	v_fmac_f64_e32 v[20:21], v[4:5], v[16:17]
	v_fma_f64 v[4:5], v[4:5], v[18:19], -v[6:7]
	v_mul_f64 v[22:23], v[4:5], s[0:1]
	s_waitcnt lgkmcnt(0)
	v_mul_f64 v[4:5], v[10:11], v[2:3]
	v_fmac_f64_e32 v[4:5], v[8:9], v[0:1]
	v_mul_f64 v[0:1], v[10:11], v[0:1]
	v_fma_f64 v[0:1], v[8:9], v[2:3], -v[0:1]
	v_mul_f64 v[6:7], v[0:1], s[0:1]
	ds_read_b128 v[0:3], v57 offset:672
	v_mad_u64_u32 v[16:17], s[2:3], s4, v53, v[24:25]
	v_add_u32_e32 v17, s5, v17
	v_mad_u64_u32 v[8:9], s[2:3], s4, v53, v[16:17]
	v_mul_f64 v[20:21], v[20:21], s[0:1]
	v_mul_f64 v[4:5], v[4:5], s[0:1]
	v_add_u32_e32 v9, s5, v9
	global_store_dwordx4 v[16:17], v[20:23], off
	global_store_dwordx4 v[8:9], v[4:7], off
	s_waitcnt lgkmcnt(0)
	s_nop 0
	v_mul_f64 v[4:5], v[14:15], v[2:3]
	v_fmac_f64_e32 v[4:5], v[12:13], v[0:1]
	v_mul_f64 v[0:1], v[14:15], v[0:1]
	v_fma_f64 v[0:1], v[12:13], v[2:3], -v[0:1]
	v_mul_f64 v[4:5], v[4:5], s[0:1]
	v_mul_f64 v[6:7], v[0:1], s[0:1]
	v_mad_u64_u32 v[0:1], s[0:1], s4, v53, v[8:9]
	v_add_u32_e32 v1, s5, v1
	global_store_dwordx4 v[0:1], v[4:7], off
.LBB0_2:
	s_endpgm
	.section	.rodata,"a",@progbits
	.p2align	6, 0x0
	.amdhsa_kernel bluestein_single_fwd_len49_dim1_dp_op_CI_CI
		.amdhsa_group_segment_fixed_size 7056
		.amdhsa_private_segment_fixed_size 0
		.amdhsa_kernarg_size 104
		.amdhsa_user_sgpr_count 2
		.amdhsa_user_sgpr_dispatch_ptr 0
		.amdhsa_user_sgpr_queue_ptr 0
		.amdhsa_user_sgpr_kernarg_segment_ptr 1
		.amdhsa_user_sgpr_dispatch_id 0
		.amdhsa_user_sgpr_kernarg_preload_length 0
		.amdhsa_user_sgpr_kernarg_preload_offset 0
		.amdhsa_user_sgpr_private_segment_size 0
		.amdhsa_uses_dynamic_stack 0
		.amdhsa_enable_private_segment 0
		.amdhsa_system_sgpr_workgroup_id_x 1
		.amdhsa_system_sgpr_workgroup_id_y 0
		.amdhsa_system_sgpr_workgroup_id_z 0
		.amdhsa_system_sgpr_workgroup_info 0
		.amdhsa_system_vgpr_workitem_id 0
		.amdhsa_next_free_vgpr 114
		.amdhsa_next_free_sgpr 32
		.amdhsa_accum_offset 116
		.amdhsa_reserve_vcc 1
		.amdhsa_float_round_mode_32 0
		.amdhsa_float_round_mode_16_64 0
		.amdhsa_float_denorm_mode_32 3
		.amdhsa_float_denorm_mode_16_64 3
		.amdhsa_dx10_clamp 1
		.amdhsa_ieee_mode 1
		.amdhsa_fp16_overflow 0
		.amdhsa_tg_split 0
		.amdhsa_exception_fp_ieee_invalid_op 0
		.amdhsa_exception_fp_denorm_src 0
		.amdhsa_exception_fp_ieee_div_zero 0
		.amdhsa_exception_fp_ieee_overflow 0
		.amdhsa_exception_fp_ieee_underflow 0
		.amdhsa_exception_fp_ieee_inexact 0
		.amdhsa_exception_int_div_zero 0
	.end_amdhsa_kernel
	.text
.Lfunc_end0:
	.size	bluestein_single_fwd_len49_dim1_dp_op_CI_CI, .Lfunc_end0-bluestein_single_fwd_len49_dim1_dp_op_CI_CI
                                        ; -- End function
	.section	.AMDGPU.csdata,"",@progbits
; Kernel info:
; codeLenInByte = 5260
; NumSgprs: 38
; NumVgprs: 114
; NumAgprs: 0
; TotalNumVgprs: 114
; ScratchSize: 0
; MemoryBound: 0
; FloatMode: 240
; IeeeMode: 1
; LDSByteSize: 7056 bytes/workgroup (compile time only)
; SGPRBlocks: 4
; VGPRBlocks: 14
; NumSGPRsForWavesPerEU: 38
; NumVGPRsForWavesPerEU: 114
; AccumOffset: 116
; Occupancy: 4
; WaveLimiterHint : 1
; COMPUTE_PGM_RSRC2:SCRATCH_EN: 0
; COMPUTE_PGM_RSRC2:USER_SGPR: 2
; COMPUTE_PGM_RSRC2:TRAP_HANDLER: 0
; COMPUTE_PGM_RSRC2:TGID_X_EN: 1
; COMPUTE_PGM_RSRC2:TGID_Y_EN: 0
; COMPUTE_PGM_RSRC2:TGID_Z_EN: 0
; COMPUTE_PGM_RSRC2:TIDIG_COMP_CNT: 0
; COMPUTE_PGM_RSRC3_GFX90A:ACCUM_OFFSET: 28
; COMPUTE_PGM_RSRC3_GFX90A:TG_SPLIT: 0
	.text
	.p2alignl 6, 3212836864
	.fill 256, 4, 3212836864
	.type	__hip_cuid_97d445be1e0e0484,@object ; @__hip_cuid_97d445be1e0e0484
	.section	.bss,"aw",@nobits
	.globl	__hip_cuid_97d445be1e0e0484
__hip_cuid_97d445be1e0e0484:
	.byte	0                               ; 0x0
	.size	__hip_cuid_97d445be1e0e0484, 1

	.ident	"AMD clang version 19.0.0git (https://github.com/RadeonOpenCompute/llvm-project roc-6.4.0 25133 c7fe45cf4b819c5991fe208aaa96edf142730f1d)"
	.section	".note.GNU-stack","",@progbits
	.addrsig
	.addrsig_sym __hip_cuid_97d445be1e0e0484
	.amdgpu_metadata
---
amdhsa.kernels:
  - .agpr_count:     0
    .args:
      - .actual_access:  read_only
        .address_space:  global
        .offset:         0
        .size:           8
        .value_kind:     global_buffer
      - .actual_access:  read_only
        .address_space:  global
        .offset:         8
        .size:           8
        .value_kind:     global_buffer
      - .actual_access:  read_only
        .address_space:  global
        .offset:         16
        .size:           8
        .value_kind:     global_buffer
      - .actual_access:  read_only
        .address_space:  global
        .offset:         24
        .size:           8
        .value_kind:     global_buffer
      - .actual_access:  read_only
        .address_space:  global
        .offset:         32
        .size:           8
        .value_kind:     global_buffer
      - .offset:         40
        .size:           8
        .value_kind:     by_value
      - .address_space:  global
        .offset:         48
        .size:           8
        .value_kind:     global_buffer
      - .address_space:  global
        .offset:         56
        .size:           8
        .value_kind:     global_buffer
      - .address_space:  global
        .offset:         64
        .size:           8
        .value_kind:     global_buffer
      - .address_space:  global
        .offset:         72
        .size:           8
        .value_kind:     global_buffer
      - .offset:         80
        .size:           4
        .value_kind:     by_value
      - .address_space:  global
        .offset:         88
        .size:           8
        .value_kind:     global_buffer
      - .address_space:  global
        .offset:         96
        .size:           8
        .value_kind:     global_buffer
    .group_segment_fixed_size: 7056
    .kernarg_segment_align: 8
    .kernarg_segment_size: 104
    .language:       OpenCL C
    .language_version:
      - 2
      - 0
    .max_flat_workgroup_size: 63
    .name:           bluestein_single_fwd_len49_dim1_dp_op_CI_CI
    .private_segment_fixed_size: 0
    .sgpr_count:     38
    .sgpr_spill_count: 0
    .symbol:         bluestein_single_fwd_len49_dim1_dp_op_CI_CI.kd
    .uniform_work_group_size: 1
    .uses_dynamic_stack: false
    .vgpr_count:     114
    .vgpr_spill_count: 0
    .wavefront_size: 64
amdhsa.target:   amdgcn-amd-amdhsa--gfx950
amdhsa.version:
  - 1
  - 2
...

	.end_amdgpu_metadata
